;; amdgpu-corpus repo=ROCm/rocSPARSE kind=compiled arch=gfx906 opt=O3
	.amdgcn_target "amdgcn-amd-amdhsa--gfx906"
	.amdhsa_code_object_version 6
	.section	.text._ZN9rocsparseL18bsrxmv_scale_arrayILj256EifEEvT0_S1_S1_PKS1_PT1_PKS4_21rocsparse_index_base_,"axG",@progbits,_ZN9rocsparseL18bsrxmv_scale_arrayILj256EifEEvT0_S1_S1_PKS1_PT1_PKS4_21rocsparse_index_base_,comdat
	.globl	_ZN9rocsparseL18bsrxmv_scale_arrayILj256EifEEvT0_S1_S1_PKS1_PT1_PKS4_21rocsparse_index_base_ ; -- Begin function _ZN9rocsparseL18bsrxmv_scale_arrayILj256EifEEvT0_S1_S1_PKS1_PT1_PKS4_21rocsparse_index_base_
	.p2align	8
	.type	_ZN9rocsparseL18bsrxmv_scale_arrayILj256EifEEvT0_S1_S1_PKS1_PT1_PKS4_21rocsparse_index_base_,@function
_ZN9rocsparseL18bsrxmv_scale_arrayILj256EifEEvT0_S1_S1_PKS1_PT1_PKS4_21rocsparse_index_base_: ; @_ZN9rocsparseL18bsrxmv_scale_arrayILj256EifEEvT0_S1_S1_PKS1_PT1_PKS4_21rocsparse_index_base_
; %bb.0:
	s_load_dwordx2 s[0:1], s[4:5], 0x20
	s_waitcnt lgkmcnt(0)
	s_load_dword s12, s[0:1], 0x0
	s_waitcnt lgkmcnt(0)
	v_cmp_eq_f32_e64 s[0:1], s12, 1.0
	s_and_b64 vcc, exec, s[0:1]
	s_cbranch_vccnz .LBB0_9
; %bb.1:
	s_load_dwordx2 s[10:11], s[4:5], 0x10
	s_load_dwordx4 s[0:3], s[4:5], 0x0
	v_lshl_or_b32 v0, s6, 8, v0
	s_mov_b64 s[6:7], 0
	s_waitcnt lgkmcnt(0)
	s_cmp_lg_u64 s[10:11], 0
	s_cbranch_scc0 .LBB0_6
; %bb.2:
	s_mul_i32 s1, s2, s1
	v_cmp_gt_i32_e32 vcc, s1, v0
                                        ; implicit-def: $vgpr1
	s_and_saveexec_b64 s[8:9], vcc
	s_xor_b64 s[8:9], exec, s[8:9]
	s_cbranch_execz .LBB0_4
; %bb.3:
	s_abs_i32 s1, s2
	v_cvt_f32_u32_e32 v1, s1
	s_sub_i32 s3, 0, s1
	v_sub_u32_e32 v3, 0, v0
	v_max_i32_e32 v3, v0, v3
	v_rcp_iflag_f32_e32 v1, v1
	v_mov_b32_e32 v5, s11
	s_mov_b64 s[6:7], exec
	v_mul_f32_e32 v1, 0x4f7ffffe, v1
	v_cvt_u32_f32_e32 v1, v1
	v_mul_lo_u32 v2, s3, v1
	v_mul_hi_u32 v2, v1, v2
	v_add_u32_e32 v1, v1, v2
	v_mul_hi_u32 v1, v3, v1
	v_xor_b32_e32 v2, s2, v0
	v_ashrrev_i32_e32 v2, 31, v2
	v_mul_lo_u32 v4, v1, s1
	v_add_u32_e32 v6, 1, v1
	v_sub_u32_e32 v3, v3, v4
	v_cmp_le_u32_e32 vcc, s1, v3
	v_subrev_u32_e32 v4, s1, v3
	v_cndmask_b32_e32 v1, v1, v6, vcc
	v_cndmask_b32_e32 v3, v3, v4, vcc
	v_add_u32_e32 v4, 1, v1
	v_cmp_le_u32_e32 vcc, s1, v3
	v_cndmask_b32_e32 v1, v1, v4, vcc
	v_xor_b32_e32 v1, v1, v2
	v_sub_u32_e32 v1, v1, v2
	v_ashrrev_i32_e32 v2, 31, v1
	v_lshlrev_b64 v[2:3], 2, v[1:2]
	s_load_dword s1, s[4:5], 0x28
	v_add_co_u32_e32 v2, vcc, s10, v2
	v_addc_co_u32_e32 v3, vcc, v5, v3, vcc
	global_load_dword v2, v[2:3], off
	v_mul_lo_u32 v1, v1, s2
	v_sub_u32_e32 v1, v0, v1
	s_waitcnt vmcnt(0) lgkmcnt(0)
	v_subrev_u32_e32 v2, s1, v2
	v_mad_u64_u32 v[1:2], s[10:11], v2, s2, v[1:2]
.LBB0_4:
	s_or_b64 exec, exec, s[8:9]
	s_branch .LBB0_7
.LBB0_5:
	s_mul_i32 s0, s2, s0
	v_cmp_gt_i32_e32 vcc, s0, v0
	s_andn2_b64 s[0:1], s[6:7], exec
	s_and_b64 s[2:3], vcc, exec
	s_or_b64 s[6:7], s[0:1], s[2:3]
	s_and_saveexec_b64 s[0:1], s[6:7]
	s_cbranch_execnz .LBB0_8
	s_branch .LBB0_9
.LBB0_6:
                                        ; implicit-def: $vgpr1
	s_cbranch_execnz .LBB0_5
.LBB0_7:
	v_mov_b32_e32 v0, v1
	s_and_saveexec_b64 s[0:1], s[6:7]
	s_cbranch_execz .LBB0_9
.LBB0_8:
	s_load_dwordx2 s[0:1], s[4:5], 0x18
	v_ashrrev_i32_e32 v1, 31, v0
	v_lshlrev_b64 v[0:1], 2, v[0:1]
	s_waitcnt lgkmcnt(0)
	v_mov_b32_e32 v2, s1
	v_add_co_u32_e32 v0, vcc, s0, v0
	v_addc_co_u32_e32 v1, vcc, v2, v1, vcc
	global_load_dword v2, v[0:1], off
	s_waitcnt vmcnt(0)
	v_mul_f32_e32 v2, s12, v2
	global_store_dword v[0:1], v2, off
.LBB0_9:
	s_endpgm
	.section	.rodata,"a",@progbits
	.p2align	6, 0x0
	.amdhsa_kernel _ZN9rocsparseL18bsrxmv_scale_arrayILj256EifEEvT0_S1_S1_PKS1_PT1_PKS4_21rocsparse_index_base_
		.amdhsa_group_segment_fixed_size 0
		.amdhsa_private_segment_fixed_size 0
		.amdhsa_kernarg_size 44
		.amdhsa_user_sgpr_count 6
		.amdhsa_user_sgpr_private_segment_buffer 1
		.amdhsa_user_sgpr_dispatch_ptr 0
		.amdhsa_user_sgpr_queue_ptr 0
		.amdhsa_user_sgpr_kernarg_segment_ptr 1
		.amdhsa_user_sgpr_dispatch_id 0
		.amdhsa_user_sgpr_flat_scratch_init 0
		.amdhsa_user_sgpr_private_segment_size 0
		.amdhsa_uses_dynamic_stack 0
		.amdhsa_system_sgpr_private_segment_wavefront_offset 0
		.amdhsa_system_sgpr_workgroup_id_x 1
		.amdhsa_system_sgpr_workgroup_id_y 0
		.amdhsa_system_sgpr_workgroup_id_z 0
		.amdhsa_system_sgpr_workgroup_info 0
		.amdhsa_system_vgpr_workitem_id 0
		.amdhsa_next_free_vgpr 7
		.amdhsa_next_free_sgpr 13
		.amdhsa_reserve_vcc 1
		.amdhsa_reserve_flat_scratch 0
		.amdhsa_float_round_mode_32 0
		.amdhsa_float_round_mode_16_64 0
		.amdhsa_float_denorm_mode_32 3
		.amdhsa_float_denorm_mode_16_64 3
		.amdhsa_dx10_clamp 1
		.amdhsa_ieee_mode 1
		.amdhsa_fp16_overflow 0
		.amdhsa_exception_fp_ieee_invalid_op 0
		.amdhsa_exception_fp_denorm_src 0
		.amdhsa_exception_fp_ieee_div_zero 0
		.amdhsa_exception_fp_ieee_overflow 0
		.amdhsa_exception_fp_ieee_underflow 0
		.amdhsa_exception_fp_ieee_inexact 0
		.amdhsa_exception_int_div_zero 0
	.end_amdhsa_kernel
	.section	.text._ZN9rocsparseL18bsrxmv_scale_arrayILj256EifEEvT0_S1_S1_PKS1_PT1_PKS4_21rocsparse_index_base_,"axG",@progbits,_ZN9rocsparseL18bsrxmv_scale_arrayILj256EifEEvT0_S1_S1_PKS1_PT1_PKS4_21rocsparse_index_base_,comdat
.Lfunc_end0:
	.size	_ZN9rocsparseL18bsrxmv_scale_arrayILj256EifEEvT0_S1_S1_PKS1_PT1_PKS4_21rocsparse_index_base_, .Lfunc_end0-_ZN9rocsparseL18bsrxmv_scale_arrayILj256EifEEvT0_S1_S1_PKS1_PT1_PKS4_21rocsparse_index_base_
                                        ; -- End function
	.set _ZN9rocsparseL18bsrxmv_scale_arrayILj256EifEEvT0_S1_S1_PKS1_PT1_PKS4_21rocsparse_index_base_.num_vgpr, 7
	.set _ZN9rocsparseL18bsrxmv_scale_arrayILj256EifEEvT0_S1_S1_PKS1_PT1_PKS4_21rocsparse_index_base_.num_agpr, 0
	.set _ZN9rocsparseL18bsrxmv_scale_arrayILj256EifEEvT0_S1_S1_PKS1_PT1_PKS4_21rocsparse_index_base_.numbered_sgpr, 13
	.set _ZN9rocsparseL18bsrxmv_scale_arrayILj256EifEEvT0_S1_S1_PKS1_PT1_PKS4_21rocsparse_index_base_.num_named_barrier, 0
	.set _ZN9rocsparseL18bsrxmv_scale_arrayILj256EifEEvT0_S1_S1_PKS1_PT1_PKS4_21rocsparse_index_base_.private_seg_size, 0
	.set _ZN9rocsparseL18bsrxmv_scale_arrayILj256EifEEvT0_S1_S1_PKS1_PT1_PKS4_21rocsparse_index_base_.uses_vcc, 1
	.set _ZN9rocsparseL18bsrxmv_scale_arrayILj256EifEEvT0_S1_S1_PKS1_PT1_PKS4_21rocsparse_index_base_.uses_flat_scratch, 0
	.set _ZN9rocsparseL18bsrxmv_scale_arrayILj256EifEEvT0_S1_S1_PKS1_PT1_PKS4_21rocsparse_index_base_.has_dyn_sized_stack, 0
	.set _ZN9rocsparseL18bsrxmv_scale_arrayILj256EifEEvT0_S1_S1_PKS1_PT1_PKS4_21rocsparse_index_base_.has_recursion, 0
	.set _ZN9rocsparseL18bsrxmv_scale_arrayILj256EifEEvT0_S1_S1_PKS1_PT1_PKS4_21rocsparse_index_base_.has_indirect_call, 0
	.section	.AMDGPU.csdata,"",@progbits
; Kernel info:
; codeLenInByte = 416
; TotalNumSgprs: 17
; NumVgprs: 7
; ScratchSize: 0
; MemoryBound: 0
; FloatMode: 240
; IeeeMode: 1
; LDSByteSize: 0 bytes/workgroup (compile time only)
; SGPRBlocks: 2
; VGPRBlocks: 1
; NumSGPRsForWavesPerEU: 17
; NumVGPRsForWavesPerEU: 7
; Occupancy: 10
; WaveLimiterHint : 0
; COMPUTE_PGM_RSRC2:SCRATCH_EN: 0
; COMPUTE_PGM_RSRC2:USER_SGPR: 6
; COMPUTE_PGM_RSRC2:TRAP_HANDLER: 0
; COMPUTE_PGM_RSRC2:TGID_X_EN: 1
; COMPUTE_PGM_RSRC2:TGID_Y_EN: 0
; COMPUTE_PGM_RSRC2:TGID_Z_EN: 0
; COMPUTE_PGM_RSRC2:TIDIG_COMP_CNT: 0
	.section	.text._ZN9rocsparseL18bsrxmv_scale_arrayILj256EidEEvT0_S1_S1_PKS1_PT1_PKS4_21rocsparse_index_base_,"axG",@progbits,_ZN9rocsparseL18bsrxmv_scale_arrayILj256EidEEvT0_S1_S1_PKS1_PT1_PKS4_21rocsparse_index_base_,comdat
	.globl	_ZN9rocsparseL18bsrxmv_scale_arrayILj256EidEEvT0_S1_S1_PKS1_PT1_PKS4_21rocsparse_index_base_ ; -- Begin function _ZN9rocsparseL18bsrxmv_scale_arrayILj256EidEEvT0_S1_S1_PKS1_PT1_PKS4_21rocsparse_index_base_
	.p2align	8
	.type	_ZN9rocsparseL18bsrxmv_scale_arrayILj256EidEEvT0_S1_S1_PKS1_PT1_PKS4_21rocsparse_index_base_,@function
_ZN9rocsparseL18bsrxmv_scale_arrayILj256EidEEvT0_S1_S1_PKS1_PT1_PKS4_21rocsparse_index_base_: ; @_ZN9rocsparseL18bsrxmv_scale_arrayILj256EidEEvT0_S1_S1_PKS1_PT1_PKS4_21rocsparse_index_base_
; %bb.0:
	s_load_dwordx2 s[0:1], s[4:5], 0x20
	s_waitcnt lgkmcnt(0)
	s_load_dwordx2 s[8:9], s[0:1], 0x0
	s_waitcnt lgkmcnt(0)
	v_cmp_eq_f64_e64 s[0:1], s[8:9], 1.0
	s_and_b64 vcc, exec, s[0:1]
	s_cbranch_vccnz .LBB1_9
; %bb.1:
	s_load_dwordx2 s[12:13], s[4:5], 0x10
	s_load_dwordx4 s[0:3], s[4:5], 0x0
	v_lshl_or_b32 v0, s6, 8, v0
	s_mov_b64 s[6:7], 0
	s_waitcnt lgkmcnt(0)
	s_cmp_lg_u64 s[12:13], 0
	s_cbranch_scc0 .LBB1_6
; %bb.2:
	s_mul_i32 s1, s2, s1
	v_cmp_gt_i32_e32 vcc, s1, v0
                                        ; implicit-def: $vgpr1
	s_and_saveexec_b64 s[10:11], vcc
	s_xor_b64 s[10:11], exec, s[10:11]
	s_cbranch_execz .LBB1_4
; %bb.3:
	s_abs_i32 s1, s2
	v_cvt_f32_u32_e32 v1, s1
	s_sub_i32 s3, 0, s1
	v_sub_u32_e32 v3, 0, v0
	v_max_i32_e32 v3, v0, v3
	v_rcp_iflag_f32_e32 v1, v1
	v_mov_b32_e32 v5, s13
	s_mov_b64 s[6:7], exec
	v_mul_f32_e32 v1, 0x4f7ffffe, v1
	v_cvt_u32_f32_e32 v1, v1
	v_mul_lo_u32 v2, s3, v1
	v_mul_hi_u32 v2, v1, v2
	v_add_u32_e32 v1, v1, v2
	v_mul_hi_u32 v1, v3, v1
	v_xor_b32_e32 v2, s2, v0
	v_ashrrev_i32_e32 v2, 31, v2
	v_mul_lo_u32 v4, v1, s1
	v_add_u32_e32 v6, 1, v1
	v_sub_u32_e32 v3, v3, v4
	v_cmp_le_u32_e32 vcc, s1, v3
	v_subrev_u32_e32 v4, s1, v3
	v_cndmask_b32_e32 v1, v1, v6, vcc
	v_cndmask_b32_e32 v3, v3, v4, vcc
	v_add_u32_e32 v4, 1, v1
	v_cmp_le_u32_e32 vcc, s1, v3
	v_cndmask_b32_e32 v1, v1, v4, vcc
	v_xor_b32_e32 v1, v1, v2
	v_sub_u32_e32 v1, v1, v2
	v_ashrrev_i32_e32 v2, 31, v1
	v_lshlrev_b64 v[2:3], 2, v[1:2]
	s_load_dword s1, s[4:5], 0x28
	v_add_co_u32_e32 v2, vcc, s12, v2
	v_addc_co_u32_e32 v3, vcc, v5, v3, vcc
	global_load_dword v2, v[2:3], off
	v_mul_lo_u32 v1, v1, s2
	v_sub_u32_e32 v1, v0, v1
	s_waitcnt vmcnt(0) lgkmcnt(0)
	v_subrev_u32_e32 v2, s1, v2
	v_mad_u64_u32 v[1:2], s[12:13], v2, s2, v[1:2]
.LBB1_4:
	s_or_b64 exec, exec, s[10:11]
	s_branch .LBB1_7
.LBB1_5:
	s_mul_i32 s0, s2, s0
	v_cmp_gt_i32_e32 vcc, s0, v0
	s_andn2_b64 s[0:1], s[6:7], exec
	s_and_b64 s[2:3], vcc, exec
	s_or_b64 s[6:7], s[0:1], s[2:3]
	s_and_saveexec_b64 s[0:1], s[6:7]
	s_cbranch_execnz .LBB1_8
	s_branch .LBB1_9
.LBB1_6:
                                        ; implicit-def: $vgpr1
	s_cbranch_execnz .LBB1_5
.LBB1_7:
	v_mov_b32_e32 v0, v1
	s_and_saveexec_b64 s[0:1], s[6:7]
	s_cbranch_execz .LBB1_9
.LBB1_8:
	s_load_dwordx2 s[0:1], s[4:5], 0x18
	v_ashrrev_i32_e32 v1, 31, v0
	v_lshlrev_b64 v[0:1], 3, v[0:1]
	s_waitcnt lgkmcnt(0)
	v_mov_b32_e32 v2, s1
	v_add_co_u32_e32 v0, vcc, s0, v0
	v_addc_co_u32_e32 v1, vcc, v2, v1, vcc
	global_load_dwordx2 v[2:3], v[0:1], off
	s_waitcnt vmcnt(0)
	v_mul_f64 v[2:3], s[8:9], v[2:3]
	global_store_dwordx2 v[0:1], v[2:3], off
.LBB1_9:
	s_endpgm
	.section	.rodata,"a",@progbits
	.p2align	6, 0x0
	.amdhsa_kernel _ZN9rocsparseL18bsrxmv_scale_arrayILj256EidEEvT0_S1_S1_PKS1_PT1_PKS4_21rocsparse_index_base_
		.amdhsa_group_segment_fixed_size 0
		.amdhsa_private_segment_fixed_size 0
		.amdhsa_kernarg_size 44
		.amdhsa_user_sgpr_count 6
		.amdhsa_user_sgpr_private_segment_buffer 1
		.amdhsa_user_sgpr_dispatch_ptr 0
		.amdhsa_user_sgpr_queue_ptr 0
		.amdhsa_user_sgpr_kernarg_segment_ptr 1
		.amdhsa_user_sgpr_dispatch_id 0
		.amdhsa_user_sgpr_flat_scratch_init 0
		.amdhsa_user_sgpr_private_segment_size 0
		.amdhsa_uses_dynamic_stack 0
		.amdhsa_system_sgpr_private_segment_wavefront_offset 0
		.amdhsa_system_sgpr_workgroup_id_x 1
		.amdhsa_system_sgpr_workgroup_id_y 0
		.amdhsa_system_sgpr_workgroup_id_z 0
		.amdhsa_system_sgpr_workgroup_info 0
		.amdhsa_system_vgpr_workitem_id 0
		.amdhsa_next_free_vgpr 7
		.amdhsa_next_free_sgpr 14
		.amdhsa_reserve_vcc 1
		.amdhsa_reserve_flat_scratch 0
		.amdhsa_float_round_mode_32 0
		.amdhsa_float_round_mode_16_64 0
		.amdhsa_float_denorm_mode_32 3
		.amdhsa_float_denorm_mode_16_64 3
		.amdhsa_dx10_clamp 1
		.amdhsa_ieee_mode 1
		.amdhsa_fp16_overflow 0
		.amdhsa_exception_fp_ieee_invalid_op 0
		.amdhsa_exception_fp_denorm_src 0
		.amdhsa_exception_fp_ieee_div_zero 0
		.amdhsa_exception_fp_ieee_overflow 0
		.amdhsa_exception_fp_ieee_underflow 0
		.amdhsa_exception_fp_ieee_inexact 0
		.amdhsa_exception_int_div_zero 0
	.end_amdhsa_kernel
	.section	.text._ZN9rocsparseL18bsrxmv_scale_arrayILj256EidEEvT0_S1_S1_PKS1_PT1_PKS4_21rocsparse_index_base_,"axG",@progbits,_ZN9rocsparseL18bsrxmv_scale_arrayILj256EidEEvT0_S1_S1_PKS1_PT1_PKS4_21rocsparse_index_base_,comdat
.Lfunc_end1:
	.size	_ZN9rocsparseL18bsrxmv_scale_arrayILj256EidEEvT0_S1_S1_PKS1_PT1_PKS4_21rocsparse_index_base_, .Lfunc_end1-_ZN9rocsparseL18bsrxmv_scale_arrayILj256EidEEvT0_S1_S1_PKS1_PT1_PKS4_21rocsparse_index_base_
                                        ; -- End function
	.set _ZN9rocsparseL18bsrxmv_scale_arrayILj256EidEEvT0_S1_S1_PKS1_PT1_PKS4_21rocsparse_index_base_.num_vgpr, 7
	.set _ZN9rocsparseL18bsrxmv_scale_arrayILj256EidEEvT0_S1_S1_PKS1_PT1_PKS4_21rocsparse_index_base_.num_agpr, 0
	.set _ZN9rocsparseL18bsrxmv_scale_arrayILj256EidEEvT0_S1_S1_PKS1_PT1_PKS4_21rocsparse_index_base_.numbered_sgpr, 14
	.set _ZN9rocsparseL18bsrxmv_scale_arrayILj256EidEEvT0_S1_S1_PKS1_PT1_PKS4_21rocsparse_index_base_.num_named_barrier, 0
	.set _ZN9rocsparseL18bsrxmv_scale_arrayILj256EidEEvT0_S1_S1_PKS1_PT1_PKS4_21rocsparse_index_base_.private_seg_size, 0
	.set _ZN9rocsparseL18bsrxmv_scale_arrayILj256EidEEvT0_S1_S1_PKS1_PT1_PKS4_21rocsparse_index_base_.uses_vcc, 1
	.set _ZN9rocsparseL18bsrxmv_scale_arrayILj256EidEEvT0_S1_S1_PKS1_PT1_PKS4_21rocsparse_index_base_.uses_flat_scratch, 0
	.set _ZN9rocsparseL18bsrxmv_scale_arrayILj256EidEEvT0_S1_S1_PKS1_PT1_PKS4_21rocsparse_index_base_.has_dyn_sized_stack, 0
	.set _ZN9rocsparseL18bsrxmv_scale_arrayILj256EidEEvT0_S1_S1_PKS1_PT1_PKS4_21rocsparse_index_base_.has_recursion, 0
	.set _ZN9rocsparseL18bsrxmv_scale_arrayILj256EidEEvT0_S1_S1_PKS1_PT1_PKS4_21rocsparse_index_base_.has_indirect_call, 0
	.section	.AMDGPU.csdata,"",@progbits
; Kernel info:
; codeLenInByte = 420
; TotalNumSgprs: 18
; NumVgprs: 7
; ScratchSize: 0
; MemoryBound: 0
; FloatMode: 240
; IeeeMode: 1
; LDSByteSize: 0 bytes/workgroup (compile time only)
; SGPRBlocks: 2
; VGPRBlocks: 1
; NumSGPRsForWavesPerEU: 18
; NumVGPRsForWavesPerEU: 7
; Occupancy: 10
; WaveLimiterHint : 0
; COMPUTE_PGM_RSRC2:SCRATCH_EN: 0
; COMPUTE_PGM_RSRC2:USER_SGPR: 6
; COMPUTE_PGM_RSRC2:TRAP_HANDLER: 0
; COMPUTE_PGM_RSRC2:TGID_X_EN: 1
; COMPUTE_PGM_RSRC2:TGID_Y_EN: 0
; COMPUTE_PGM_RSRC2:TGID_Z_EN: 0
; COMPUTE_PGM_RSRC2:TIDIG_COMP_CNT: 0
	.section	.text._ZN9rocsparseL18bsrxmv_scale_arrayILj256Ei21rocsparse_complex_numIfEEEvT0_S3_S3_PKS3_PT1_PKS6_21rocsparse_index_base_,"axG",@progbits,_ZN9rocsparseL18bsrxmv_scale_arrayILj256Ei21rocsparse_complex_numIfEEEvT0_S3_S3_PKS3_PT1_PKS6_21rocsparse_index_base_,comdat
	.globl	_ZN9rocsparseL18bsrxmv_scale_arrayILj256Ei21rocsparse_complex_numIfEEEvT0_S3_S3_PKS3_PT1_PKS6_21rocsparse_index_base_ ; -- Begin function _ZN9rocsparseL18bsrxmv_scale_arrayILj256Ei21rocsparse_complex_numIfEEEvT0_S3_S3_PKS3_PT1_PKS6_21rocsparse_index_base_
	.p2align	8
	.type	_ZN9rocsparseL18bsrxmv_scale_arrayILj256Ei21rocsparse_complex_numIfEEEvT0_S3_S3_PKS3_PT1_PKS6_21rocsparse_index_base_,@function
_ZN9rocsparseL18bsrxmv_scale_arrayILj256Ei21rocsparse_complex_numIfEEEvT0_S3_S3_PKS3_PT1_PKS6_21rocsparse_index_base_: ; @_ZN9rocsparseL18bsrxmv_scale_arrayILj256Ei21rocsparse_complex_numIfEEEvT0_S3_S3_PKS3_PT1_PKS6_21rocsparse_index_base_
; %bb.0:
	s_load_dwordx2 s[0:1], s[4:5], 0x20
	s_waitcnt lgkmcnt(0)
	s_load_dwordx2 s[8:9], s[0:1], 0x0
	s_waitcnt lgkmcnt(0)
	v_cmp_neq_f32_e64 s[0:1], s8, 1.0
	v_cmp_neq_f32_e64 s[2:3], s9, 0
	s_or_b64 s[0:1], s[0:1], s[2:3]
	s_andn2_b64 vcc, exec, s[0:1]
	s_cbranch_vccnz .LBB2_9
; %bb.1:
	s_load_dwordx2 s[12:13], s[4:5], 0x10
	s_load_dwordx4 s[0:3], s[4:5], 0x0
	v_lshl_or_b32 v0, s6, 8, v0
	s_mov_b64 s[6:7], 0
	s_waitcnt lgkmcnt(0)
	s_cmp_lg_u64 s[12:13], 0
	s_cbranch_scc0 .LBB2_6
; %bb.2:
	s_mul_i32 s1, s2, s1
	v_cmp_gt_i32_e32 vcc, s1, v0
                                        ; implicit-def: $vgpr1
	s_and_saveexec_b64 s[10:11], vcc
	s_xor_b64 s[10:11], exec, s[10:11]
	s_cbranch_execz .LBB2_4
; %bb.3:
	s_abs_i32 s1, s2
	v_cvt_f32_u32_e32 v1, s1
	s_sub_i32 s3, 0, s1
	v_sub_u32_e32 v3, 0, v0
	v_max_i32_e32 v3, v0, v3
	v_rcp_iflag_f32_e32 v1, v1
	v_mov_b32_e32 v5, s13
	s_mov_b64 s[6:7], exec
	v_mul_f32_e32 v1, 0x4f7ffffe, v1
	v_cvt_u32_f32_e32 v1, v1
	v_mul_lo_u32 v2, s3, v1
	v_mul_hi_u32 v2, v1, v2
	v_add_u32_e32 v1, v1, v2
	v_mul_hi_u32 v1, v3, v1
	v_xor_b32_e32 v2, s2, v0
	v_ashrrev_i32_e32 v2, 31, v2
	v_mul_lo_u32 v4, v1, s1
	v_add_u32_e32 v6, 1, v1
	v_sub_u32_e32 v3, v3, v4
	v_cmp_le_u32_e32 vcc, s1, v3
	v_subrev_u32_e32 v4, s1, v3
	v_cndmask_b32_e32 v1, v1, v6, vcc
	v_cndmask_b32_e32 v3, v3, v4, vcc
	v_add_u32_e32 v4, 1, v1
	v_cmp_le_u32_e32 vcc, s1, v3
	v_cndmask_b32_e32 v1, v1, v4, vcc
	v_xor_b32_e32 v1, v1, v2
	v_sub_u32_e32 v1, v1, v2
	v_ashrrev_i32_e32 v2, 31, v1
	v_lshlrev_b64 v[2:3], 2, v[1:2]
	s_load_dword s1, s[4:5], 0x28
	v_add_co_u32_e32 v2, vcc, s12, v2
	v_addc_co_u32_e32 v3, vcc, v5, v3, vcc
	global_load_dword v2, v[2:3], off
	v_mul_lo_u32 v1, v1, s2
	v_sub_u32_e32 v1, v0, v1
	s_waitcnt vmcnt(0) lgkmcnt(0)
	v_subrev_u32_e32 v2, s1, v2
	v_mad_u64_u32 v[1:2], s[12:13], v2, s2, v[1:2]
.LBB2_4:
	s_or_b64 exec, exec, s[10:11]
	s_branch .LBB2_7
.LBB2_5:
	s_mul_i32 s0, s2, s0
	v_cmp_gt_i32_e32 vcc, s0, v0
	s_andn2_b64 s[0:1], s[6:7], exec
	s_and_b64 s[2:3], vcc, exec
	s_or_b64 s[6:7], s[0:1], s[2:3]
	s_and_saveexec_b64 s[0:1], s[6:7]
	s_cbranch_execnz .LBB2_8
	s_branch .LBB2_9
.LBB2_6:
                                        ; implicit-def: $vgpr1
	s_cbranch_execnz .LBB2_5
.LBB2_7:
	v_mov_b32_e32 v0, v1
	s_and_saveexec_b64 s[0:1], s[6:7]
	s_cbranch_execz .LBB2_9
.LBB2_8:
	s_load_dwordx2 s[0:1], s[4:5], 0x18
	v_ashrrev_i32_e32 v1, 31, v0
	v_lshlrev_b64 v[0:1], 3, v[0:1]
	s_waitcnt lgkmcnt(0)
	v_mov_b32_e32 v2, s1
	v_add_co_u32_e32 v0, vcc, s0, v0
	v_addc_co_u32_e32 v1, vcc, v2, v1, vcc
	global_load_dwordx2 v[2:3], v[0:1], off
	s_waitcnt vmcnt(0)
	v_mul_f32_e64 v4, s9, -v3
	v_mul_f32_e32 v5, s9, v2
	v_fmac_f32_e32 v4, s8, v2
	v_fmac_f32_e32 v5, s8, v3
	global_store_dwordx2 v[0:1], v[4:5], off
.LBB2_9:
	s_endpgm
	.section	.rodata,"a",@progbits
	.p2align	6, 0x0
	.amdhsa_kernel _ZN9rocsparseL18bsrxmv_scale_arrayILj256Ei21rocsparse_complex_numIfEEEvT0_S3_S3_PKS3_PT1_PKS6_21rocsparse_index_base_
		.amdhsa_group_segment_fixed_size 0
		.amdhsa_private_segment_fixed_size 0
		.amdhsa_kernarg_size 44
		.amdhsa_user_sgpr_count 6
		.amdhsa_user_sgpr_private_segment_buffer 1
		.amdhsa_user_sgpr_dispatch_ptr 0
		.amdhsa_user_sgpr_queue_ptr 0
		.amdhsa_user_sgpr_kernarg_segment_ptr 1
		.amdhsa_user_sgpr_dispatch_id 0
		.amdhsa_user_sgpr_flat_scratch_init 0
		.amdhsa_user_sgpr_private_segment_size 0
		.amdhsa_uses_dynamic_stack 0
		.amdhsa_system_sgpr_private_segment_wavefront_offset 0
		.amdhsa_system_sgpr_workgroup_id_x 1
		.amdhsa_system_sgpr_workgroup_id_y 0
		.amdhsa_system_sgpr_workgroup_id_z 0
		.amdhsa_system_sgpr_workgroup_info 0
		.amdhsa_system_vgpr_workitem_id 0
		.amdhsa_next_free_vgpr 7
		.amdhsa_next_free_sgpr 14
		.amdhsa_reserve_vcc 1
		.amdhsa_reserve_flat_scratch 0
		.amdhsa_float_round_mode_32 0
		.amdhsa_float_round_mode_16_64 0
		.amdhsa_float_denorm_mode_32 3
		.amdhsa_float_denorm_mode_16_64 3
		.amdhsa_dx10_clamp 1
		.amdhsa_ieee_mode 1
		.amdhsa_fp16_overflow 0
		.amdhsa_exception_fp_ieee_invalid_op 0
		.amdhsa_exception_fp_denorm_src 0
		.amdhsa_exception_fp_ieee_div_zero 0
		.amdhsa_exception_fp_ieee_overflow 0
		.amdhsa_exception_fp_ieee_underflow 0
		.amdhsa_exception_fp_ieee_inexact 0
		.amdhsa_exception_int_div_zero 0
	.end_amdhsa_kernel
	.section	.text._ZN9rocsparseL18bsrxmv_scale_arrayILj256Ei21rocsparse_complex_numIfEEEvT0_S3_S3_PKS3_PT1_PKS6_21rocsparse_index_base_,"axG",@progbits,_ZN9rocsparseL18bsrxmv_scale_arrayILj256Ei21rocsparse_complex_numIfEEEvT0_S3_S3_PKS3_PT1_PKS6_21rocsparse_index_base_,comdat
.Lfunc_end2:
	.size	_ZN9rocsparseL18bsrxmv_scale_arrayILj256Ei21rocsparse_complex_numIfEEEvT0_S3_S3_PKS3_PT1_PKS6_21rocsparse_index_base_, .Lfunc_end2-_ZN9rocsparseL18bsrxmv_scale_arrayILj256Ei21rocsparse_complex_numIfEEEvT0_S3_S3_PKS3_PT1_PKS6_21rocsparse_index_base_
                                        ; -- End function
	.set _ZN9rocsparseL18bsrxmv_scale_arrayILj256Ei21rocsparse_complex_numIfEEEvT0_S3_S3_PKS3_PT1_PKS6_21rocsparse_index_base_.num_vgpr, 7
	.set _ZN9rocsparseL18bsrxmv_scale_arrayILj256Ei21rocsparse_complex_numIfEEEvT0_S3_S3_PKS3_PT1_PKS6_21rocsparse_index_base_.num_agpr, 0
	.set _ZN9rocsparseL18bsrxmv_scale_arrayILj256Ei21rocsparse_complex_numIfEEEvT0_S3_S3_PKS3_PT1_PKS6_21rocsparse_index_base_.numbered_sgpr, 14
	.set _ZN9rocsparseL18bsrxmv_scale_arrayILj256Ei21rocsparse_complex_numIfEEEvT0_S3_S3_PKS3_PT1_PKS6_21rocsparse_index_base_.num_named_barrier, 0
	.set _ZN9rocsparseL18bsrxmv_scale_arrayILj256Ei21rocsparse_complex_numIfEEEvT0_S3_S3_PKS3_PT1_PKS6_21rocsparse_index_base_.private_seg_size, 0
	.set _ZN9rocsparseL18bsrxmv_scale_arrayILj256Ei21rocsparse_complex_numIfEEEvT0_S3_S3_PKS3_PT1_PKS6_21rocsparse_index_base_.uses_vcc, 1
	.set _ZN9rocsparseL18bsrxmv_scale_arrayILj256Ei21rocsparse_complex_numIfEEEvT0_S3_S3_PKS3_PT1_PKS6_21rocsparse_index_base_.uses_flat_scratch, 0
	.set _ZN9rocsparseL18bsrxmv_scale_arrayILj256Ei21rocsparse_complex_numIfEEEvT0_S3_S3_PKS3_PT1_PKS6_21rocsparse_index_base_.has_dyn_sized_stack, 0
	.set _ZN9rocsparseL18bsrxmv_scale_arrayILj256Ei21rocsparse_complex_numIfEEEvT0_S3_S3_PKS3_PT1_PKS6_21rocsparse_index_base_.has_recursion, 0
	.set _ZN9rocsparseL18bsrxmv_scale_arrayILj256Ei21rocsparse_complex_numIfEEEvT0_S3_S3_PKS3_PT1_PKS6_21rocsparse_index_base_.has_indirect_call, 0
	.section	.AMDGPU.csdata,"",@progbits
; Kernel info:
; codeLenInByte = 444
; TotalNumSgprs: 18
; NumVgprs: 7
; ScratchSize: 0
; MemoryBound: 0
; FloatMode: 240
; IeeeMode: 1
; LDSByteSize: 0 bytes/workgroup (compile time only)
; SGPRBlocks: 2
; VGPRBlocks: 1
; NumSGPRsForWavesPerEU: 18
; NumVGPRsForWavesPerEU: 7
; Occupancy: 10
; WaveLimiterHint : 0
; COMPUTE_PGM_RSRC2:SCRATCH_EN: 0
; COMPUTE_PGM_RSRC2:USER_SGPR: 6
; COMPUTE_PGM_RSRC2:TRAP_HANDLER: 0
; COMPUTE_PGM_RSRC2:TGID_X_EN: 1
; COMPUTE_PGM_RSRC2:TGID_Y_EN: 0
; COMPUTE_PGM_RSRC2:TGID_Z_EN: 0
; COMPUTE_PGM_RSRC2:TIDIG_COMP_CNT: 0
	.section	.text._ZN9rocsparseL18bsrxmv_scale_arrayILj256Ei21rocsparse_complex_numIdEEEvT0_S3_S3_PKS3_PT1_PKS6_21rocsparse_index_base_,"axG",@progbits,_ZN9rocsparseL18bsrxmv_scale_arrayILj256Ei21rocsparse_complex_numIdEEEvT0_S3_S3_PKS3_PT1_PKS6_21rocsparse_index_base_,comdat
	.globl	_ZN9rocsparseL18bsrxmv_scale_arrayILj256Ei21rocsparse_complex_numIdEEEvT0_S3_S3_PKS3_PT1_PKS6_21rocsparse_index_base_ ; -- Begin function _ZN9rocsparseL18bsrxmv_scale_arrayILj256Ei21rocsparse_complex_numIdEEEvT0_S3_S3_PKS3_PT1_PKS6_21rocsparse_index_base_
	.p2align	8
	.type	_ZN9rocsparseL18bsrxmv_scale_arrayILj256Ei21rocsparse_complex_numIdEEEvT0_S3_S3_PKS3_PT1_PKS6_21rocsparse_index_base_,@function
_ZN9rocsparseL18bsrxmv_scale_arrayILj256Ei21rocsparse_complex_numIdEEEvT0_S3_S3_PKS3_PT1_PKS6_21rocsparse_index_base_: ; @_ZN9rocsparseL18bsrxmv_scale_arrayILj256Ei21rocsparse_complex_numIdEEEvT0_S3_S3_PKS3_PT1_PKS6_21rocsparse_index_base_
; %bb.0:
	s_load_dwordx2 s[8:9], s[4:5], 0x20
	s_mov_b64 s[12:13], 0
	s_waitcnt lgkmcnt(0)
	s_load_dwordx4 s[0:3], s[8:9], 0x0
	s_waitcnt lgkmcnt(0)
	v_cmp_neq_f64_e64 s[8:9], s[0:1], 1.0
	v_cmp_neq_f64_e64 s[10:11], s[2:3], 0
	s_or_b64 s[8:9], s[8:9], s[10:11]
	s_andn2_b64 vcc, exec, s[8:9]
	s_cbranch_vccnz .LBB3_9
; %bb.1:
	s_load_dwordx2 s[14:15], s[4:5], 0x10
	s_load_dwordx4 s[8:11], s[4:5], 0x0
	v_lshl_or_b32 v0, s6, 8, v0
	s_mov_b64 s[6:7], 0
	s_waitcnt lgkmcnt(0)
	s_cmp_lg_u64 s[14:15], 0
	s_cbranch_scc0 .LBB3_6
; %bb.2:
	s_mul_i32 s9, s10, s9
	v_cmp_gt_i32_e32 vcc, s9, v0
                                        ; implicit-def: $vgpr1
	s_and_saveexec_b64 s[12:13], vcc
	s_xor_b64 s[12:13], exec, s[12:13]
	s_cbranch_execz .LBB3_4
; %bb.3:
	s_abs_i32 s9, s10
	v_cvt_f32_u32_e32 v1, s9
	s_sub_i32 s11, 0, s9
	v_sub_u32_e32 v3, 0, v0
	v_max_i32_e32 v3, v0, v3
	v_rcp_iflag_f32_e32 v1, v1
	v_mov_b32_e32 v5, s15
	s_mov_b64 s[6:7], exec
	v_mul_f32_e32 v1, 0x4f7ffffe, v1
	v_cvt_u32_f32_e32 v1, v1
	v_mul_lo_u32 v2, s11, v1
	v_mul_hi_u32 v2, v1, v2
	v_add_u32_e32 v1, v1, v2
	v_mul_hi_u32 v1, v3, v1
	v_xor_b32_e32 v2, s10, v0
	v_ashrrev_i32_e32 v2, 31, v2
	v_mul_lo_u32 v4, v1, s9
	v_add_u32_e32 v6, 1, v1
	v_sub_u32_e32 v3, v3, v4
	v_cmp_le_u32_e32 vcc, s9, v3
	v_subrev_u32_e32 v4, s9, v3
	v_cndmask_b32_e32 v1, v1, v6, vcc
	v_cndmask_b32_e32 v3, v3, v4, vcc
	v_add_u32_e32 v4, 1, v1
	v_cmp_le_u32_e32 vcc, s9, v3
	v_cndmask_b32_e32 v1, v1, v4, vcc
	v_xor_b32_e32 v1, v1, v2
	v_sub_u32_e32 v1, v1, v2
	v_ashrrev_i32_e32 v2, 31, v1
	v_lshlrev_b64 v[2:3], 2, v[1:2]
	s_load_dword s9, s[4:5], 0x28
	v_add_co_u32_e32 v2, vcc, s14, v2
	v_addc_co_u32_e32 v3, vcc, v5, v3, vcc
	global_load_dword v2, v[2:3], off
	v_mul_lo_u32 v1, v1, s10
	v_sub_u32_e32 v1, v0, v1
	s_waitcnt vmcnt(0) lgkmcnt(0)
	v_subrev_u32_e32 v2, s9, v2
	v_mad_u64_u32 v[1:2], s[14:15], v2, s10, v[1:2]
.LBB3_4:
	s_or_b64 exec, exec, s[12:13]
	s_mov_b64 s[12:13], s[6:7]
	s_branch .LBB3_7
.LBB3_5:
	s_mul_i32 s6, s10, s8
	v_cmp_gt_i32_e32 vcc, s6, v0
	s_andn2_b64 s[6:7], s[12:13], exec
	s_and_b64 s[8:9], vcc, exec
	s_or_b64 s[12:13], s[6:7], s[8:9]
	s_and_saveexec_b64 s[6:7], s[12:13]
	s_cbranch_execnz .LBB3_8
	s_branch .LBB3_9
.LBB3_6:
                                        ; implicit-def: $vgpr1
	s_cbranch_execnz .LBB3_5
.LBB3_7:
	v_mov_b32_e32 v0, v1
	s_and_saveexec_b64 s[6:7], s[12:13]
	s_cbranch_execz .LBB3_9
.LBB3_8:
	s_load_dwordx2 s[4:5], s[4:5], 0x18
	v_ashrrev_i32_e32 v1, 31, v0
	v_lshlrev_b64 v[0:1], 4, v[0:1]
	s_waitcnt lgkmcnt(0)
	v_mov_b32_e32 v2, s5
	v_add_co_u32_e32 v4, vcc, s4, v0
	v_addc_co_u32_e32 v5, vcc, v2, v1, vcc
	global_load_dwordx4 v[0:3], v[4:5], off
	s_waitcnt vmcnt(0)
	v_mul_f64 v[6:7], s[2:3], -v[2:3]
	v_mul_f64 v[8:9], s[2:3], v[0:1]
	v_fma_f64 v[0:1], v[0:1], s[0:1], v[6:7]
	v_fma_f64 v[2:3], v[2:3], s[0:1], v[8:9]
	global_store_dwordx4 v[4:5], v[0:3], off
.LBB3_9:
	s_endpgm
	.section	.rodata,"a",@progbits
	.p2align	6, 0x0
	.amdhsa_kernel _ZN9rocsparseL18bsrxmv_scale_arrayILj256Ei21rocsparse_complex_numIdEEEvT0_S3_S3_PKS3_PT1_PKS6_21rocsparse_index_base_
		.amdhsa_group_segment_fixed_size 0
		.amdhsa_private_segment_fixed_size 0
		.amdhsa_kernarg_size 44
		.amdhsa_user_sgpr_count 6
		.amdhsa_user_sgpr_private_segment_buffer 1
		.amdhsa_user_sgpr_dispatch_ptr 0
		.amdhsa_user_sgpr_queue_ptr 0
		.amdhsa_user_sgpr_kernarg_segment_ptr 1
		.amdhsa_user_sgpr_dispatch_id 0
		.amdhsa_user_sgpr_flat_scratch_init 0
		.amdhsa_user_sgpr_private_segment_size 0
		.amdhsa_uses_dynamic_stack 0
		.amdhsa_system_sgpr_private_segment_wavefront_offset 0
		.amdhsa_system_sgpr_workgroup_id_x 1
		.amdhsa_system_sgpr_workgroup_id_y 0
		.amdhsa_system_sgpr_workgroup_id_z 0
		.amdhsa_system_sgpr_workgroup_info 0
		.amdhsa_system_vgpr_workitem_id 0
		.amdhsa_next_free_vgpr 10
		.amdhsa_next_free_sgpr 16
		.amdhsa_reserve_vcc 1
		.amdhsa_reserve_flat_scratch 0
		.amdhsa_float_round_mode_32 0
		.amdhsa_float_round_mode_16_64 0
		.amdhsa_float_denorm_mode_32 3
		.amdhsa_float_denorm_mode_16_64 3
		.amdhsa_dx10_clamp 1
		.amdhsa_ieee_mode 1
		.amdhsa_fp16_overflow 0
		.amdhsa_exception_fp_ieee_invalid_op 0
		.amdhsa_exception_fp_denorm_src 0
		.amdhsa_exception_fp_ieee_div_zero 0
		.amdhsa_exception_fp_ieee_overflow 0
		.amdhsa_exception_fp_ieee_underflow 0
		.amdhsa_exception_fp_ieee_inexact 0
		.amdhsa_exception_int_div_zero 0
	.end_amdhsa_kernel
	.section	.text._ZN9rocsparseL18bsrxmv_scale_arrayILj256Ei21rocsparse_complex_numIdEEEvT0_S3_S3_PKS3_PT1_PKS6_21rocsparse_index_base_,"axG",@progbits,_ZN9rocsparseL18bsrxmv_scale_arrayILj256Ei21rocsparse_complex_numIdEEEvT0_S3_S3_PKS3_PT1_PKS6_21rocsparse_index_base_,comdat
.Lfunc_end3:
	.size	_ZN9rocsparseL18bsrxmv_scale_arrayILj256Ei21rocsparse_complex_numIdEEEvT0_S3_S3_PKS3_PT1_PKS6_21rocsparse_index_base_, .Lfunc_end3-_ZN9rocsparseL18bsrxmv_scale_arrayILj256Ei21rocsparse_complex_numIdEEEvT0_S3_S3_PKS3_PT1_PKS6_21rocsparse_index_base_
                                        ; -- End function
	.set _ZN9rocsparseL18bsrxmv_scale_arrayILj256Ei21rocsparse_complex_numIdEEEvT0_S3_S3_PKS3_PT1_PKS6_21rocsparse_index_base_.num_vgpr, 10
	.set _ZN9rocsparseL18bsrxmv_scale_arrayILj256Ei21rocsparse_complex_numIdEEEvT0_S3_S3_PKS3_PT1_PKS6_21rocsparse_index_base_.num_agpr, 0
	.set _ZN9rocsparseL18bsrxmv_scale_arrayILj256Ei21rocsparse_complex_numIdEEEvT0_S3_S3_PKS3_PT1_PKS6_21rocsparse_index_base_.numbered_sgpr, 16
	.set _ZN9rocsparseL18bsrxmv_scale_arrayILj256Ei21rocsparse_complex_numIdEEEvT0_S3_S3_PKS3_PT1_PKS6_21rocsparse_index_base_.num_named_barrier, 0
	.set _ZN9rocsparseL18bsrxmv_scale_arrayILj256Ei21rocsparse_complex_numIdEEEvT0_S3_S3_PKS3_PT1_PKS6_21rocsparse_index_base_.private_seg_size, 0
	.set _ZN9rocsparseL18bsrxmv_scale_arrayILj256Ei21rocsparse_complex_numIdEEEvT0_S3_S3_PKS3_PT1_PKS6_21rocsparse_index_base_.uses_vcc, 1
	.set _ZN9rocsparseL18bsrxmv_scale_arrayILj256Ei21rocsparse_complex_numIdEEEvT0_S3_S3_PKS3_PT1_PKS6_21rocsparse_index_base_.uses_flat_scratch, 0
	.set _ZN9rocsparseL18bsrxmv_scale_arrayILj256Ei21rocsparse_complex_numIdEEEvT0_S3_S3_PKS3_PT1_PKS6_21rocsparse_index_base_.has_dyn_sized_stack, 0
	.set _ZN9rocsparseL18bsrxmv_scale_arrayILj256Ei21rocsparse_complex_numIdEEEvT0_S3_S3_PKS3_PT1_PKS6_21rocsparse_index_base_.has_recursion, 0
	.set _ZN9rocsparseL18bsrxmv_scale_arrayILj256Ei21rocsparse_complex_numIdEEEvT0_S3_S3_PKS3_PT1_PKS6_21rocsparse_index_base_.has_indirect_call, 0
	.section	.AMDGPU.csdata,"",@progbits
; Kernel info:
; codeLenInByte = 464
; TotalNumSgprs: 20
; NumVgprs: 10
; ScratchSize: 0
; MemoryBound: 0
; FloatMode: 240
; IeeeMode: 1
; LDSByteSize: 0 bytes/workgroup (compile time only)
; SGPRBlocks: 2
; VGPRBlocks: 2
; NumSGPRsForWavesPerEU: 20
; NumVGPRsForWavesPerEU: 10
; Occupancy: 10
; WaveLimiterHint : 0
; COMPUTE_PGM_RSRC2:SCRATCH_EN: 0
; COMPUTE_PGM_RSRC2:USER_SGPR: 6
; COMPUTE_PGM_RSRC2:TRAP_HANDLER: 0
; COMPUTE_PGM_RSRC2:TGID_X_EN: 1
; COMPUTE_PGM_RSRC2:TGID_Y_EN: 0
; COMPUTE_PGM_RSRC2:TGID_Z_EN: 0
; COMPUTE_PGM_RSRC2:TIDIG_COMP_CNT: 0
	.section	.AMDGPU.gpr_maximums,"",@progbits
	.set amdgpu.max_num_vgpr, 0
	.set amdgpu.max_num_agpr, 0
	.set amdgpu.max_num_sgpr, 0
	.section	.AMDGPU.csdata,"",@progbits
	.type	__hip_cuid_898869d8d3023ccc,@object ; @__hip_cuid_898869d8d3023ccc
	.section	.bss,"aw",@nobits
	.globl	__hip_cuid_898869d8d3023ccc
__hip_cuid_898869d8d3023ccc:
	.byte	0                               ; 0x0
	.size	__hip_cuid_898869d8d3023ccc, 1

	.ident	"AMD clang version 22.0.0git (https://github.com/RadeonOpenCompute/llvm-project roc-7.2.4 26084 f58b06dce1f9c15707c5f808fd002e18c2accf7e)"
	.section	".note.GNU-stack","",@progbits
	.addrsig
	.addrsig_sym __hip_cuid_898869d8d3023ccc
	.amdgpu_metadata
---
amdhsa.kernels:
  - .args:
      - .offset:         0
        .size:           4
        .value_kind:     by_value
      - .offset:         4
        .size:           4
        .value_kind:     by_value
      - .offset:         8
        .size:           4
        .value_kind:     by_value
      - .actual_access:  read_only
        .address_space:  global
        .offset:         16
        .size:           8
        .value_kind:     global_buffer
      - .address_space:  global
        .offset:         24
        .size:           8
        .value_kind:     global_buffer
      - .address_space:  global
        .offset:         32
        .size:           8
        .value_kind:     global_buffer
      - .offset:         40
        .size:           4
        .value_kind:     by_value
    .group_segment_fixed_size: 0
    .kernarg_segment_align: 8
    .kernarg_segment_size: 44
    .language:       OpenCL C
    .language_version:
      - 2
      - 0
    .max_flat_workgroup_size: 256
    .name:           _ZN9rocsparseL18bsrxmv_scale_arrayILj256EifEEvT0_S1_S1_PKS1_PT1_PKS4_21rocsparse_index_base_
    .private_segment_fixed_size: 0
    .sgpr_count:     17
    .sgpr_spill_count: 0
    .symbol:         _ZN9rocsparseL18bsrxmv_scale_arrayILj256EifEEvT0_S1_S1_PKS1_PT1_PKS4_21rocsparse_index_base_.kd
    .uniform_work_group_size: 1
    .uses_dynamic_stack: false
    .vgpr_count:     7
    .vgpr_spill_count: 0
    .wavefront_size: 64
  - .args:
      - .offset:         0
        .size:           4
        .value_kind:     by_value
      - .offset:         4
        .size:           4
        .value_kind:     by_value
      - .offset:         8
        .size:           4
        .value_kind:     by_value
      - .actual_access:  read_only
        .address_space:  global
        .offset:         16
        .size:           8
        .value_kind:     global_buffer
      - .address_space:  global
        .offset:         24
        .size:           8
        .value_kind:     global_buffer
      - .address_space:  global
        .offset:         32
        .size:           8
        .value_kind:     global_buffer
      - .offset:         40
        .size:           4
        .value_kind:     by_value
    .group_segment_fixed_size: 0
    .kernarg_segment_align: 8
    .kernarg_segment_size: 44
    .language:       OpenCL C
    .language_version:
      - 2
      - 0
    .max_flat_workgroup_size: 256
    .name:           _ZN9rocsparseL18bsrxmv_scale_arrayILj256EidEEvT0_S1_S1_PKS1_PT1_PKS4_21rocsparse_index_base_
    .private_segment_fixed_size: 0
    .sgpr_count:     18
    .sgpr_spill_count: 0
    .symbol:         _ZN9rocsparseL18bsrxmv_scale_arrayILj256EidEEvT0_S1_S1_PKS1_PT1_PKS4_21rocsparse_index_base_.kd
    .uniform_work_group_size: 1
    .uses_dynamic_stack: false
    .vgpr_count:     7
    .vgpr_spill_count: 0
    .wavefront_size: 64
  - .args:
      - .offset:         0
        .size:           4
        .value_kind:     by_value
      - .offset:         4
        .size:           4
        .value_kind:     by_value
      - .offset:         8
        .size:           4
        .value_kind:     by_value
      - .actual_access:  read_only
        .address_space:  global
        .offset:         16
        .size:           8
        .value_kind:     global_buffer
      - .address_space:  global
        .offset:         24
        .size:           8
        .value_kind:     global_buffer
      - .address_space:  global
        .offset:         32
        .size:           8
        .value_kind:     global_buffer
      - .offset:         40
        .size:           4
        .value_kind:     by_value
    .group_segment_fixed_size: 0
    .kernarg_segment_align: 8
    .kernarg_segment_size: 44
    .language:       OpenCL C
    .language_version:
      - 2
      - 0
    .max_flat_workgroup_size: 256
    .name:           _ZN9rocsparseL18bsrxmv_scale_arrayILj256Ei21rocsparse_complex_numIfEEEvT0_S3_S3_PKS3_PT1_PKS6_21rocsparse_index_base_
    .private_segment_fixed_size: 0
    .sgpr_count:     18
    .sgpr_spill_count: 0
    .symbol:         _ZN9rocsparseL18bsrxmv_scale_arrayILj256Ei21rocsparse_complex_numIfEEEvT0_S3_S3_PKS3_PT1_PKS6_21rocsparse_index_base_.kd
    .uniform_work_group_size: 1
    .uses_dynamic_stack: false
    .vgpr_count:     7
    .vgpr_spill_count: 0
    .wavefront_size: 64
  - .args:
      - .offset:         0
        .size:           4
        .value_kind:     by_value
      - .offset:         4
        .size:           4
        .value_kind:     by_value
      - .offset:         8
        .size:           4
        .value_kind:     by_value
      - .actual_access:  read_only
        .address_space:  global
        .offset:         16
        .size:           8
        .value_kind:     global_buffer
      - .address_space:  global
        .offset:         24
        .size:           8
        .value_kind:     global_buffer
      - .address_space:  global
        .offset:         32
        .size:           8
        .value_kind:     global_buffer
      - .offset:         40
        .size:           4
        .value_kind:     by_value
    .group_segment_fixed_size: 0
    .kernarg_segment_align: 8
    .kernarg_segment_size: 44
    .language:       OpenCL C
    .language_version:
      - 2
      - 0
    .max_flat_workgroup_size: 256
    .name:           _ZN9rocsparseL18bsrxmv_scale_arrayILj256Ei21rocsparse_complex_numIdEEEvT0_S3_S3_PKS3_PT1_PKS6_21rocsparse_index_base_
    .private_segment_fixed_size: 0
    .sgpr_count:     20
    .sgpr_spill_count: 0
    .symbol:         _ZN9rocsparseL18bsrxmv_scale_arrayILj256Ei21rocsparse_complex_numIdEEEvT0_S3_S3_PKS3_PT1_PKS6_21rocsparse_index_base_.kd
    .uniform_work_group_size: 1
    .uses_dynamic_stack: false
    .vgpr_count:     10
    .vgpr_spill_count: 0
    .wavefront_size: 64
amdhsa.target:   amdgcn-amd-amdhsa--gfx906
amdhsa.version:
  - 1
  - 2
...

	.end_amdgpu_metadata
